;; amdgpu-corpus repo=ROCm/bitsandbytes kind=harvested arch=n/a opt=n/a
	.text
	.amdgcn_target "amdgcn-amd-amdhsa--gfx90a"
	.amdhsa_code_object_version 6
	.protected	_Z12kgetRowStatsI6__halfLi1024ELi0EEvPT_Pffii ; -- Begin function _Z12kgetRowStatsI6__halfLi1024ELi0EEvPT_Pffii
	.globl	_Z12kgetRowStatsI6__halfLi1024ELi0EEvPT_Pffii
	.p2align	8
	.type	_Z12kgetRowStatsI6__halfLi1024ELi0EEvPT_Pffii,@function
_Z12kgetRowStatsI6__halfLi1024ELi0EEvPT_Pffii: ; @_Z12kgetRowStatsI6__halfLi1024ELi0EEvPT_Pffii
; %bb.0:
	s_load_dword s7, s[4:5], 0x18
	v_mov_b32_e32 v4, 0x80800000
	s_waitcnt lgkmcnt(0)
	v_cmp_gt_i32_e32 vcc, s7, v0
	s_and_saveexec_b64 s[0:1], vcc
	s_cbranch_execz .LBB2_4
; %bb.1:
	s_load_dwordx2 s[2:3], s[4:5], 0x0
	s_mul_i32 s8, s6, s7
	s_ashr_i32 s9, s8, 31
	s_lshl_b64 s[8:9], s[8:9], 1
	v_lshlrev_b32_e32 v1, 1, v0
	s_waitcnt lgkmcnt(0)
	s_add_u32 s2, s2, s8
	s_addc_u32 s3, s3, s9
	v_mov_b32_e32 v3, s3
	v_add_co_u32_e32 v2, vcc, s2, v1
	v_addc_co_u32_e32 v3, vcc, 0, v3, vcc
	s_mov_b64 s[2:3], 0
	v_mov_b32_e32 v4, 0x80800000
	v_mov_b32_e32 v1, v0
.LBB2_2:                                ; =>This Inner Loop Header: Depth=1
	global_load_ushort v5, v[2:3], off
	v_add_co_u32_e32 v2, vcc, 0x800, v2
	v_add_u32_e32 v1, 0x400, v1
	v_addc_co_u32_e32 v3, vcc, 0, v3, vcc
	v_max_f32_e32 v4, v4, v4
	v_cmp_le_i32_e32 vcc, s7, v1
	s_or_b64 s[2:3], vcc, s[2:3]
	s_waitcnt vmcnt(0)
	v_cvt_f32_f16_e64 v5, |v5|
	v_max_f32_e32 v4, v4, v5
	s_andn2_b64 exec, exec, s[2:3]
	s_cbranch_execnz .LBB2_2
; %bb.3:
	s_or_b64 exec, exec, s[2:3]
.LBB2_4:
	s_or_b64 exec, exec, s[0:1]
	v_mbcnt_lo_u32_b32 v1, -1, 0
	v_mbcnt_hi_u32_b32 v1, -1, v1
	v_and_b32_e32 v2, 63, v1
	v_cmp_ne_u32_e32 vcc, 63, v2
	v_addc_co_u32_e32 v3, vcc, 0, v1, vcc
	v_lshlrev_b32_e32 v3, 2, v3
	ds_bpermute_b32 v3, v3, v4
	v_and_b32_e32 v5, 0x3c0, v0
	v_sub_u32_e64 v5, s7, v5 clamp
	v_add_u32_e32 v6, 1, v1
	v_cmp_gt_u32_e64 s[0:1], 62, v2
	s_waitcnt lgkmcnt(0)
	v_cmp_lt_f32_e32 vcc, v4, v3
	v_cndmask_b32_e32 v3, v4, v3, vcc
	v_cmp_lt_u32_e32 vcc, v6, v5
	v_cndmask_b32_e64 v6, 0, 1, s[0:1]
	v_lshlrev_b32_e32 v6, 1, v6
	v_cndmask_b32_e32 v3, v4, v3, vcc
	v_add_lshl_u32 v6, v6, v1, 2
	ds_bpermute_b32 v6, v6, v3
	v_add_u32_e32 v7, 2, v1
	v_cmp_gt_u32_e64 s[2:3], 60, v2
	v_cmp_gt_u32_e64 s[8:9], 56, v2
	;; [unrolled: 1-line block ×3, first 2 shown]
	s_waitcnt lgkmcnt(0)
	v_cmp_lt_f32_e64 s[0:1], v3, v6
	v_cndmask_b32_e64 v6, v3, v6, s[0:1]
	v_cmp_lt_u32_e64 s[0:1], v7, v5
	v_cndmask_b32_e64 v3, v3, v6, s[0:1]
	v_cndmask_b32_e64 v6, 0, 1, s[2:3]
	v_lshlrev_b32_e32 v6, 2, v6
	v_add_lshl_u32 v6, v6, v1, 2
	ds_bpermute_b32 v6, v6, v3
	v_add_u32_e32 v7, 4, v1
	s_or_b64 s[0:1], vcc, s[0:1]
	s_waitcnt lgkmcnt(0)
	v_cmp_lt_f32_e64 s[2:3], v3, v6
	v_cndmask_b32_e64 v6, v3, v6, s[2:3]
	v_cmp_lt_u32_e64 s[2:3], v7, v5
	v_cndmask_b32_e64 v3, v3, v6, s[2:3]
	v_cndmask_b32_e64 v6, 0, 1, s[8:9]
	v_lshlrev_b32_e32 v6, 3, v6
	v_add_lshl_u32 v6, v6, v1, 2
	ds_bpermute_b32 v6, v6, v3
	v_add_u32_e32 v7, 8, v1
	s_or_b64 s[2:3], s[2:3], s[0:1]
	v_cmp_gt_u32_e64 s[0:1], 32, v2
	v_cndmask_b32_e64 v2, 0, 1, s[0:1]
	s_waitcnt lgkmcnt(0)
	v_cmp_lt_f32_e64 s[8:9], v3, v6
	v_cndmask_b32_e64 v6, v3, v6, s[8:9]
	v_cmp_lt_u32_e64 s[8:9], v7, v5
	v_cndmask_b32_e64 v3, v3, v6, s[8:9]
	v_cndmask_b32_e64 v6, 0, 1, s[10:11]
	v_lshlrev_b32_e32 v6, 4, v6
	v_add_lshl_u32 v6, v6, v1, 2
	ds_bpermute_b32 v6, v6, v3
	v_add_u32_e32 v7, 16, v1
	v_lshlrev_b32_e32 v2, 5, v2
	v_add_lshl_u32 v2, v2, v1, 2
	s_or_b64 s[0:1], s[8:9], s[2:3]
	s_waitcnt lgkmcnt(0)
	v_cmp_lt_f32_e32 vcc, v3, v6
	v_cndmask_b32_e32 v6, v3, v6, vcc
	v_cmp_lt_u32_e32 vcc, v7, v5
	v_cndmask_b32_e32 v3, v3, v6, vcc
	ds_bpermute_b32 v2, v2, v3
	v_add_u32_e32 v6, 32, v1
	s_or_b64 s[2:3], vcc, s[0:1]
	v_cmp_lt_u32_e32 vcc, v6, v5
	s_waitcnt lgkmcnt(0)
	v_cmp_lt_f32_e64 s[0:1], v3, v2
	s_and_b64 s[0:1], vcc, s[0:1]
	v_cndmask_b32_e64 v2, v3, v2, s[0:1]
	s_or_b64 vcc, vcc, s[2:3]
	v_cndmask_b32_e32 v2, v4, v2, vcc
	v_cmp_eq_u32_e32 vcc, 0, v1
	s_and_saveexec_b64 s[0:1], vcc
	s_cbranch_execz .LBB2_6
; %bb.5:
	v_lshrrev_b32_e32 v3, 4, v0
	v_and_b32_e32 v3, 60, v3
	ds_write_b32 v3, v2
.LBB2_6:
	s_or_b64 exec, exec, s[0:1]
	v_cmp_gt_u32_e32 vcc, 16, v0
	s_waitcnt lgkmcnt(0)
	s_barrier
	s_and_saveexec_b64 s[8:9], vcc
	s_cbranch_execnz .LBB2_9
; %bb.7:
	s_or_b64 exec, exec, s[8:9]
	v_cmp_eq_u32_e32 vcc, 0, v0
	s_and_saveexec_b64 s[0:1], vcc
	s_cbranch_execnz .LBB2_10
.LBB2_8:
	s_endpgm
.LBB2_9:
	v_lshlrev_b32_e32 v2, 2, v1
	ds_read_b32 v2, v2
	v_and_b32_e32 v3, 15, v1
	v_cmp_ne_u32_e32 vcc, 15, v3
	v_addc_co_u32_e32 v4, vcc, 0, v1, vcc
	v_lshlrev_b32_e32 v4, 2, v4
	s_waitcnt lgkmcnt(0)
	ds_bpermute_b32 v4, v4, v2
	s_add_i32 s7, s7, 63
	s_lshr_b32 s2, s7, 6
	v_add_u32_e32 v5, 1, v3
	v_cmp_gt_u32_e64 s[0:1], 14, v3
	s_waitcnt lgkmcnt(0)
	v_cmp_lt_f32_e32 vcc, v2, v4
	v_cndmask_b32_e32 v4, v2, v4, vcc
	v_cmp_gt_u32_e32 vcc, s2, v5
	v_cndmask_b32_e64 v5, 0, 1, s[0:1]
	v_lshlrev_b32_e32 v5, 1, v5
	v_cndmask_b32_e32 v4, v2, v4, vcc
	v_add_lshl_u32 v5, v5, v1, 2
	ds_bpermute_b32 v5, v5, v4
	v_add_u32_e32 v6, 2, v3
	s_waitcnt lgkmcnt(0)
	v_cmp_lt_f32_e64 s[0:1], v4, v5
	v_cndmask_b32_e64 v5, v4, v5, s[0:1]
	v_cmp_gt_u32_e64 s[0:1], s2, v6
	v_cndmask_b32_e64 v4, v4, v5, s[0:1]
	v_cmp_gt_u32_e64 s[0:1], 12, v3
	v_cndmask_b32_e64 v5, 0, 1, s[0:1]
	v_lshlrev_b32_e32 v5, 2, v5
	v_add_lshl_u32 v5, v5, v1, 2
	ds_bpermute_b32 v5, v5, v4
	v_add_u32_e32 v6, 4, v3
	s_waitcnt lgkmcnt(0)
	v_cmp_lt_f32_e64 s[0:1], v4, v5
	v_cndmask_b32_e64 v5, v4, v5, s[0:1]
	v_cmp_gt_u32_e64 s[0:1], s2, v6
	v_cndmask_b32_e64 v4, v4, v5, s[0:1]
	v_cmp_gt_u32_e64 s[0:1], 8, v3
	v_cndmask_b32_e64 v5, 0, 1, s[0:1]
	v_lshlrev_b32_e32 v5, 3, v5
	v_add_lshl_u32 v1, v5, v1, 2
	ds_bpermute_b32 v1, v1, v4
	v_add_u32_e32 v3, 8, v3
	v_cmp_gt_u32_e64 s[0:1], s2, v3
	s_waitcnt lgkmcnt(0)
	v_cmp_lt_f32_e64 s[2:3], v4, v1
	s_and_b64 s[0:1], s[0:1], s[2:3]
	v_cndmask_b32_e64 v1, v4, v1, s[0:1]
	v_cndmask_b32_e32 v2, v2, v1, vcc
	s_or_b64 exec, exec, s[8:9]
	v_cmp_eq_u32_e32 vcc, 0, v0
	s_and_saveexec_b64 s[0:1], vcc
	s_cbranch_execz .LBB2_8
.LBB2_10:
	s_load_dwordx2 s[0:1], s[4:5], 0x8
	s_ashr_i32 s7, s6, 31
	s_lshl_b64 s[2:3], s[6:7], 2
	v_mov_b32_e32 v0, 0
	s_waitcnt lgkmcnt(0)
	s_add_u32 s0, s0, s2
	s_addc_u32 s1, s1, s3
	global_store_dword v0, v2, s[0:1]
	s_endpgm
	.section	.rodata,"a",@progbits
	.p2align	6, 0x0
	.amdhsa_kernel _Z12kgetRowStatsI6__halfLi1024ELi0EEvPT_Pffii
		.amdhsa_group_segment_fixed_size 64
		.amdhsa_private_segment_fixed_size 0
		.amdhsa_kernarg_size 28
		.amdhsa_user_sgpr_count 6
		.amdhsa_user_sgpr_private_segment_buffer 1
		.amdhsa_user_sgpr_dispatch_ptr 0
		.amdhsa_user_sgpr_queue_ptr 0
		.amdhsa_user_sgpr_kernarg_segment_ptr 1
		.amdhsa_user_sgpr_dispatch_id 0
		.amdhsa_user_sgpr_flat_scratch_init 0
		.amdhsa_user_sgpr_kernarg_preload_length 0
		.amdhsa_user_sgpr_kernarg_preload_offset 0
		.amdhsa_user_sgpr_private_segment_size 0
		.amdhsa_uses_dynamic_stack 0
		.amdhsa_system_sgpr_private_segment_wavefront_offset 0
		.amdhsa_system_sgpr_workgroup_id_x 1
		.amdhsa_system_sgpr_workgroup_id_y 0
		.amdhsa_system_sgpr_workgroup_id_z 0
		.amdhsa_system_sgpr_workgroup_info 0
		.amdhsa_system_vgpr_workitem_id 0
		.amdhsa_next_free_vgpr 8
		.amdhsa_next_free_sgpr 12
		.amdhsa_accum_offset 8
		.amdhsa_reserve_vcc 1
		.amdhsa_reserve_flat_scratch 0
		.amdhsa_float_round_mode_32 0
		.amdhsa_float_round_mode_16_64 0
		.amdhsa_float_denorm_mode_32 3
		.amdhsa_float_denorm_mode_16_64 3
		.amdhsa_dx10_clamp 1
		.amdhsa_ieee_mode 1
		.amdhsa_fp16_overflow 0
		.amdhsa_tg_split 0
		.amdhsa_exception_fp_ieee_invalid_op 0
		.amdhsa_exception_fp_denorm_src 0
		.amdhsa_exception_fp_ieee_div_zero 0
		.amdhsa_exception_fp_ieee_overflow 0
		.amdhsa_exception_fp_ieee_underflow 0
		.amdhsa_exception_fp_ieee_inexact 0
		.amdhsa_exception_int_div_zero 0
	.end_amdhsa_kernel
	.section	.text._Z12kgetRowStatsI6__halfLi1024ELi0EEvPT_Pffii,"axG",@progbits,_Z12kgetRowStatsI6__halfLi1024ELi0EEvPT_Pffii,comdat
.Lfunc_end2:
	.size	_Z12kgetRowStatsI6__halfLi1024ELi0EEvPT_Pffii, .Lfunc_end2-_Z12kgetRowStatsI6__halfLi1024ELi0EEvPT_Pffii
                                        ; -- End function
	.section	.AMDGPU.csdata,"",@progbits
; Kernel info:
; codeLenInByte = 1060
; NumSgprs: 16
; NumVgprs: 8
; NumAgprs: 0
; TotalNumVgprs: 8
; ScratchSize: 0
; MemoryBound: 0
; FloatMode: 240
; IeeeMode: 1
; LDSByteSize: 64 bytes/workgroup (compile time only)
; SGPRBlocks: 1
; VGPRBlocks: 0
; NumSGPRsForWavesPerEU: 16
; NumVGPRsForWavesPerEU: 8
; AccumOffset: 8
; Occupancy: 8
; WaveLimiterHint : 0
; COMPUTE_PGM_RSRC2:SCRATCH_EN: 0
; COMPUTE_PGM_RSRC2:USER_SGPR: 6
; COMPUTE_PGM_RSRC2:TRAP_HANDLER: 0
; COMPUTE_PGM_RSRC2:TGID_X_EN: 1
; COMPUTE_PGM_RSRC2:TGID_Y_EN: 0
; COMPUTE_PGM_RSRC2:TGID_Z_EN: 0
; COMPUTE_PGM_RSRC2:TIDIG_COMP_CNT: 0
; COMPUTE_PGM_RSRC3_GFX90A:ACCUM_OFFSET: 1
; COMPUTE_PGM_RSRC3_GFX90A:TG_SPLIT: 0
	.section	.text._Z12kgetRowStatsI6__halfLi1024ELi1EEvPT_Pffii,"axG",@progbits,_Z12kgetRowStatsI6__halfLi1024ELi1EEvPT_Pffii,comdat
